;; amdgpu-corpus repo=ROCm/rocFFT kind=compiled arch=gfx1030 opt=O3
	.text
	.amdgcn_target "amdgcn-amd-amdhsa--gfx1030"
	.amdhsa_code_object_version 6
	.protected	fft_rtc_fwd_len224_factors_8_7_4_wgs_504_tpt_56_sp_op_CI_CI_sbcc ; -- Begin function fft_rtc_fwd_len224_factors_8_7_4_wgs_504_tpt_56_sp_op_CI_CI_sbcc
	.globl	fft_rtc_fwd_len224_factors_8_7_4_wgs_504_tpt_56_sp_op_CI_CI_sbcc
	.p2align	8
	.type	fft_rtc_fwd_len224_factors_8_7_4_wgs_504_tpt_56_sp_op_CI_CI_sbcc,@function
fft_rtc_fwd_len224_factors_8_7_4_wgs_504_tpt_56_sp_op_CI_CI_sbcc: ; @fft_rtc_fwd_len224_factors_8_7_4_wgs_504_tpt_56_sp_op_CI_CI_sbcc
; %bb.0:
	s_clause 0x1
	s_load_dwordx4 s[12:15], s[4:5], 0x18
	s_load_dwordx2 s[26:27], s[4:5], 0x28
	s_mov_b64 s[20:21], 0
	s_waitcnt lgkmcnt(0)
	s_load_dwordx2 s[24:25], s[12:13], 0x8
	s_waitcnt lgkmcnt(0)
	s_add_u32 s0, s24, -1
	s_addc_u32 s1, s25, -1
	s_add_u32 s2, 0, 0x71c4fc00
	s_addc_u32 s3, 0, 0x7c
	s_mul_hi_u32 s8, s2, -9
	s_add_i32 s3, s3, 0x1c71c6a0
	s_sub_i32 s8, s8, s2
	s_mul_i32 s10, s3, -9
	s_mul_i32 s7, s2, -9
	s_add_i32 s8, s8, s10
	s_mul_hi_u32 s9, s2, s7
	s_mul_i32 s16, s2, s8
	s_mul_hi_u32 s10, s2, s8
	s_mul_hi_u32 s11, s3, s7
	s_mul_i32 s7, s3, s7
	s_add_u32 s9, s9, s16
	s_addc_u32 s10, 0, s10
	s_mul_hi_u32 s17, s3, s8
	s_add_u32 s7, s9, s7
	s_mul_i32 s8, s3, s8
	s_addc_u32 s7, s10, s11
	s_addc_u32 s9, s17, 0
	s_add_u32 s7, s7, s8
	v_add_co_u32 v1, s2, s2, s7
	s_addc_u32 s7, 0, s9
	s_cmp_lg_u32 s2, 0
	s_addc_u32 s2, s3, s7
	v_readfirstlane_b32 s3, v1
	s_mul_i32 s8, s0, s2
	s_mul_hi_u32 s7, s0, s2
	s_mul_hi_u32 s9, s1, s2
	s_mul_i32 s2, s1, s2
	s_mul_hi_u32 s10, s0, s3
	s_mul_hi_u32 s11, s1, s3
	s_mul_i32 s3, s1, s3
	s_add_u32 s8, s10, s8
	s_addc_u32 s7, 0, s7
	s_add_u32 s3, s8, s3
	s_addc_u32 s3, s7, s11
	s_addc_u32 s7, s9, 0
	s_add_u32 s2, s3, s2
	s_addc_u32 s3, 0, s7
	s_mul_i32 s8, s2, 9
	s_add_u32 s7, s2, 1
	v_sub_co_u32 v1, s0, s0, s8
	s_mul_hi_u32 s8, s2, 9
	s_addc_u32 s9, s3, 0
	s_mul_i32 s10, s3, 9
	v_sub_co_u32 v2, s11, v1, 9
	s_add_u32 s16, s2, 2
	s_addc_u32 s17, s3, 0
	s_add_i32 s8, s8, s10
	s_cmp_lg_u32 s0, 0
	v_readfirstlane_b32 s0, v2
	s_subb_u32 s1, s1, s8
	s_cmp_lg_u32 s11, 0
	s_subb_u32 s8, s1, 0
	s_cmp_gt_u32 s0, 8
	s_cselect_b32 s0, -1, 0
	s_cmp_eq_u32 s8, 0
	v_readfirstlane_b32 s8, v1
	s_cselect_b32 s0, s0, -1
	s_cmp_lg_u32 s0, 0
	s_cselect_b32 s0, s16, s7
	s_cselect_b32 s9, s17, s9
	s_cmp_gt_u32 s8, 8
	s_cselect_b32 s7, -1, 0
	s_cmp_eq_u32 s1, 0
	s_cselect_b32 s1, s7, -1
	s_mov_b32 s7, 0
	s_cmp_lg_u32 s1, 0
	s_cselect_b32 s0, s0, s2
	s_cselect_b32 s1, s9, s3
	s_add_u32 s30, s0, 1
	s_addc_u32 s31, s1, 0
	v_cmp_lt_u64_e64 s0, s[6:7], s[30:31]
	s_and_b32 vcc_lo, exec_lo, s0
	s_cbranch_vccnz .LBB0_2
; %bb.1:
	v_cvt_f32_u32_e32 v1, s30
	s_sub_i32 s1, 0, s30
	s_mov_b32 s21, s7
	v_rcp_iflag_f32_e32 v1, v1
	v_mul_f32_e32 v1, 0x4f7ffffe, v1
	v_cvt_u32_f32_e32 v1, v1
	v_readfirstlane_b32 s0, v1
	s_mul_i32 s1, s1, s0
	s_mul_hi_u32 s1, s0, s1
	s_add_i32 s0, s0, s1
	s_mul_hi_u32 s0, s6, s0
	s_mul_i32 s1, s0, s30
	s_add_i32 s2, s0, 1
	s_sub_i32 s1, s6, s1
	s_sub_i32 s3, s1, s30
	s_cmp_ge_u32 s1, s30
	s_cselect_b32 s0, s2, s0
	s_cselect_b32 s1, s3, s1
	s_add_i32 s2, s0, 1
	s_cmp_ge_u32 s1, s30
	s_cselect_b32 s20, s2, s0
.LBB0_2:
	s_load_dwordx4 s[16:19], s[14:15], 0x0
	s_load_dwordx4 s[0:3], s[26:27], 0x0
	s_clause 0x1
	s_load_dwordx2 s[34:35], s[4:5], 0x10
	s_load_dwordx2 s[22:23], s[4:5], 0x0
	s_mul_i32 s8, s20, s31
	s_mul_hi_u32 s9, s20, s30
	s_mul_i32 s10, s20, s30
	s_add_i32 s9, s9, s8
	s_sub_u32 s48, s6, s10
	s_subb_u32 s8, 0, s9
	s_mul_hi_u32 s33, s48, 9
	s_mul_i32 s28, s8, 9
	s_load_dwordx4 s[8:11], s[4:5], 0x60
	s_add_i32 s33, s33, s28
	s_mul_i32 s48, s48, 9
	s_waitcnt lgkmcnt(0)
	s_mul_i32 s4, s18, s33
	s_mul_hi_u32 s5, s18, s48
	v_cmp_lt_u64_e64 s38, s[34:35], 3
	s_mul_i32 s29, s2, s33
	s_mul_hi_u32 s36, s2, s48
	s_mul_i32 s28, s19, s48
	s_mul_i32 s37, s3, s48
	s_add_i32 s4, s5, s4
	s_add_i32 s5, s36, s29
	;; [unrolled: 1-line block ×3, first 2 shown]
	s_mul_i32 s28, s18, s48
	s_add_i32 s5, s5, s37
	s_and_b32 vcc_lo, exec_lo, s38
	s_mul_i32 s4, s2, s48
	s_cbranch_vccnz .LBB0_12
; %bb.3:
	s_add_u32 s36, s26, 16
	s_addc_u32 s37, s27, 0
	s_add_u32 s38, s14, 16
	s_addc_u32 s39, s15, 0
	;; [unrolled: 2-line block ×3, first 2 shown]
	s_mov_b64 s[40:41], 2
	s_mov_b32 s42, 0
.LBB0_4:                                ; =>This Inner Loop Header: Depth=1
	s_load_dwordx2 s[44:45], s[12:13], 0x0
	s_waitcnt lgkmcnt(0)
	s_or_b64 s[46:47], s[20:21], s[44:45]
	s_mov_b32 s43, s47
                                        ; implicit-def: $sgpr46_sgpr47
	s_cmp_lg_u64 s[42:43], 0
	s_mov_b32 s43, -1
	s_cbranch_scc0 .LBB0_6
; %bb.5:                                ;   in Loop: Header=BB0_4 Depth=1
	v_cvt_f32_u32_e32 v1, s44
	v_cvt_f32_u32_e32 v2, s45
	s_sub_u32 s47, 0, s44
	s_subb_u32 s49, 0, s45
	v_fmac_f32_e32 v1, 0x4f800000, v2
	v_rcp_f32_e32 v1, v1
	v_mul_f32_e32 v1, 0x5f7ffffc, v1
	v_mul_f32_e32 v2, 0x2f800000, v1
	v_trunc_f32_e32 v2, v2
	v_fmac_f32_e32 v1, 0xcf800000, v2
	v_cvt_u32_f32_e32 v2, v2
	v_cvt_u32_f32_e32 v1, v1
	v_readfirstlane_b32 s43, v2
	v_readfirstlane_b32 s46, v1
	s_mul_i32 s50, s47, s43
	s_mul_hi_u32 s52, s47, s46
	s_mul_i32 s51, s49, s46
	s_add_i32 s50, s52, s50
	s_mul_i32 s53, s47, s46
	s_add_i32 s50, s50, s51
	s_mul_hi_u32 s52, s46, s53
	s_mul_hi_u32 s54, s43, s53
	s_mul_i32 s51, s43, s53
	s_mul_hi_u32 s53, s46, s50
	s_mul_i32 s46, s46, s50
	s_mul_hi_u32 s55, s43, s50
	s_add_u32 s46, s52, s46
	s_addc_u32 s52, 0, s53
	s_add_u32 s46, s46, s51
	s_mul_i32 s50, s43, s50
	s_addc_u32 s46, s52, s54
	s_addc_u32 s51, s55, 0
	s_add_u32 s46, s46, s50
	s_addc_u32 s50, 0, s51
	v_add_co_u32 v1, s46, v1, s46
	s_cmp_lg_u32 s46, 0
	s_addc_u32 s43, s43, s50
	v_readfirstlane_b32 s46, v1
	s_mul_i32 s50, s47, s43
	s_mul_hi_u32 s51, s47, s46
	s_mul_i32 s49, s49, s46
	s_add_i32 s50, s51, s50
	s_mul_i32 s47, s47, s46
	s_add_i32 s50, s50, s49
	s_mul_hi_u32 s51, s43, s47
	s_mul_i32 s52, s43, s47
	s_mul_hi_u32 s47, s46, s47
	s_mul_hi_u32 s53, s46, s50
	s_mul_i32 s46, s46, s50
	s_mul_hi_u32 s49, s43, s50
	s_add_u32 s46, s47, s46
	s_addc_u32 s47, 0, s53
	s_add_u32 s46, s46, s52
	s_mul_i32 s50, s43, s50
	s_addc_u32 s46, s47, s51
	s_addc_u32 s47, s49, 0
	s_add_u32 s46, s46, s50
	s_addc_u32 s47, 0, s47
	v_add_co_u32 v1, s46, v1, s46
	s_cmp_lg_u32 s46, 0
	s_addc_u32 s43, s43, s47
	v_readfirstlane_b32 s46, v1
	s_mul_i32 s49, s20, s43
	s_mul_hi_u32 s47, s20, s43
	s_mul_hi_u32 s50, s21, s43
	s_mul_i32 s43, s21, s43
	s_mul_hi_u32 s51, s20, s46
	s_mul_hi_u32 s52, s21, s46
	s_mul_i32 s46, s21, s46
	s_add_u32 s49, s51, s49
	s_addc_u32 s47, 0, s47
	s_add_u32 s46, s49, s46
	s_addc_u32 s46, s47, s52
	s_addc_u32 s47, s50, 0
	s_add_u32 s46, s46, s43
	s_addc_u32 s47, 0, s47
	s_mul_hi_u32 s43, s44, s46
	s_mul_i32 s50, s44, s47
	s_mul_i32 s51, s44, s46
	s_add_i32 s43, s43, s50
	v_sub_co_u32 v1, s50, s20, s51
	s_mul_i32 s49, s45, s46
	s_add_i32 s43, s43, s49
	v_sub_co_u32 v2, s51, v1, s44
	s_sub_i32 s49, s21, s43
	s_cmp_lg_u32 s50, 0
	s_subb_u32 s49, s49, s45
	s_cmp_lg_u32 s51, 0
	v_readfirstlane_b32 s51, v2
	s_subb_u32 s49, s49, 0
	s_cmp_ge_u32 s49, s45
	s_cselect_b32 s52, -1, 0
	s_cmp_ge_u32 s51, s44
	s_cselect_b32 s51, -1, 0
	s_cmp_eq_u32 s49, s45
	s_cselect_b32 s49, s51, s52
	s_add_u32 s51, s46, 1
	s_addc_u32 s52, s47, 0
	s_add_u32 s53, s46, 2
	s_addc_u32 s54, s47, 0
	s_cmp_lg_u32 s49, 0
	s_cselect_b32 s49, s53, s51
	s_cselect_b32 s51, s54, s52
	s_cmp_lg_u32 s50, 0
	v_readfirstlane_b32 s50, v1
	s_subb_u32 s43, s21, s43
	s_cmp_ge_u32 s43, s45
	s_cselect_b32 s52, -1, 0
	s_cmp_ge_u32 s50, s44
	s_cselect_b32 s50, -1, 0
	s_cmp_eq_u32 s43, s45
	s_cselect_b32 s43, s50, s52
	s_cmp_lg_u32 s43, 0
	s_mov_b32 s43, 0
	s_cselect_b32 s47, s51, s47
	s_cselect_b32 s46, s49, s46
.LBB0_6:                                ;   in Loop: Header=BB0_4 Depth=1
	s_andn2_b32 vcc_lo, exec_lo, s43
	s_cbranch_vccnz .LBB0_8
; %bb.7:                                ;   in Loop: Header=BB0_4 Depth=1
	v_cvt_f32_u32_e32 v1, s44
	s_sub_i32 s46, 0, s44
	v_rcp_iflag_f32_e32 v1, v1
	v_mul_f32_e32 v1, 0x4f7ffffe, v1
	v_cvt_u32_f32_e32 v1, v1
	v_readfirstlane_b32 s43, v1
	s_mul_i32 s46, s46, s43
	s_mul_hi_u32 s46, s43, s46
	s_add_i32 s43, s43, s46
	s_mul_hi_u32 s43, s20, s43
	s_mul_i32 s46, s43, s44
	s_add_i32 s47, s43, 1
	s_sub_i32 s46, s20, s46
	s_sub_i32 s49, s46, s44
	s_cmp_ge_u32 s46, s44
	s_cselect_b32 s43, s47, s43
	s_cselect_b32 s46, s49, s46
	s_add_i32 s47, s43, 1
	s_cmp_ge_u32 s46, s44
	s_cselect_b32 s46, s47, s43
	s_mov_b32 s47, s42
.LBB0_8:                                ;   in Loop: Header=BB0_4 Depth=1
	s_load_dwordx2 s[50:51], s[38:39], 0x0
	s_load_dwordx2 s[52:53], s[36:37], 0x0
	s_mul_i32 s31, s44, s31
	s_mul_hi_u32 s43, s44, s30
	s_mul_i32 s49, s45, s30
	s_mul_i32 s45, s46, s45
	s_mul_hi_u32 s54, s46, s44
	s_mul_i32 s55, s47, s44
	s_add_i32 s31, s43, s31
	s_add_i32 s43, s54, s45
	s_mul_i32 s56, s46, s44
	s_add_i32 s31, s31, s49
	s_add_i32 s43, s43, s55
	s_sub_u32 s20, s20, s56
	s_subb_u32 s21, s21, s43
	s_mul_i32 s30, s44, s30
	s_waitcnt lgkmcnt(0)
	s_mul_i32 s43, s50, s21
	s_mul_hi_u32 s45, s50, s20
	s_mul_i32 s49, s51, s20
	s_add_i32 s43, s45, s43
	s_mul_i32 s50, s50, s20
	s_mul_i32 s21, s52, s21
	s_mul_hi_u32 s45, s52, s20
	s_add_i32 s43, s43, s49
	s_add_u32 s28, s50, s28
	s_addc_u32 s29, s43, s29
	s_add_i32 s21, s45, s21
	s_mul_i32 s43, s53, s20
	s_mul_i32 s20, s52, s20
	s_add_i32 s21, s21, s43
	s_add_u32 s4, s20, s4
	s_addc_u32 s5, s21, s5
	s_add_u32 s40, s40, 1
	s_addc_u32 s41, s41, 0
	s_add_u32 s36, s36, 8
	v_cmp_ge_u64_e64 s20, s[40:41], s[34:35]
	s_addc_u32 s37, s37, 0
	s_add_u32 s38, s38, 8
	s_addc_u32 s39, s39, 0
	s_add_u32 s12, s12, 8
	s_addc_u32 s13, s13, 0
	s_and_b32 vcc_lo, exec_lo, s20
	s_cbranch_vccnz .LBB0_10
; %bb.9:                                ;   in Loop: Header=BB0_4 Depth=1
	s_mov_b64 s[20:21], s[46:47]
	s_branch .LBB0_4
.LBB0_10:
	v_cmp_lt_u64_e64 s7, s[6:7], s[30:31]
	s_mov_b64 s[20:21], 0
	s_and_b32 vcc_lo, exec_lo, s7
	s_cbranch_vccnz .LBB0_12
; %bb.11:
	v_cvt_f32_u32_e32 v1, s30
	s_sub_i32 s12, 0, s30
	v_rcp_iflag_f32_e32 v1, v1
	v_mul_f32_e32 v1, 0x4f7ffffe, v1
	v_cvt_u32_f32_e32 v1, v1
	v_readfirstlane_b32 s7, v1
	s_mul_i32 s12, s12, s7
	s_mul_hi_u32 s12, s7, s12
	s_add_i32 s7, s7, s12
	s_mul_hi_u32 s7, s6, s7
	s_mul_i32 s12, s7, s30
	s_sub_i32 s6, s6, s12
	s_add_i32 s12, s7, 1
	s_sub_i32 s13, s6, s30
	s_cmp_ge_u32 s6, s30
	s_cselect_b32 s7, s12, s7
	s_cselect_b32 s6, s13, s6
	s_add_i32 s12, s7, 1
	s_cmp_ge_u32 s6, s30
	s_cselect_b32 s20, s12, s7
.LBB0_12:
	v_mul_u32_u24_e32 v1, 0x1c72, v0
	s_lshl_b64 s[12:13], s[34:35], 3
	s_add_u32 s6, s26, s12
	s_addc_u32 s7, s27, s13
	v_lshrrev_b32_e32 v19, 16, v1
	s_add_u32 s26, s48, 9
	s_addc_u32 s27, s33, 0
	v_mul_lo_u16 v1, v19, 9
	v_lshlrev_b32_e32 v22, 3, v19
	v_add_nc_u32_e32 v17, 56, v19
	v_add_nc_u32_e32 v18, 0x70, v19
	;; [unrolled: 1-line block ×3, first 2 shown]
	v_sub_nc_u16 v1, v0, v1
	v_and_b32_e32 v20, 0xffff, v1
	v_add_co_u32 v1, s21, s48, v20
	v_add_co_ci_u32_e64 v2, null, s33, 0, s21
	v_cmp_le_u64_e64 s21, s[26:27], s[24:25]
	v_mul_u32_u24_e32 v21, 0x700, v20
	v_cmp_gt_u64_e32 vcc_lo, s[24:25], v[1:2]
	s_or_b32 s21, s21, vcc_lo
	s_and_saveexec_b32 s24, s21
	s_cbranch_execz .LBB0_14
; %bb.13:
	s_add_u32 s12, s14, s12
	s_addc_u32 s13, s15, s13
	v_mad_u64_u32 v[1:2], null, s18, v20, 0
	s_load_dwordx2 s[12:13], s[12:13], 0x0
	v_mad_u64_u32 v[3:4], null, s16, v19, 0
	v_mad_u64_u32 v[5:6], null, s16, v17, 0
	;; [unrolled: 1-line block ×7, first 2 shown]
	v_mov_b32_e32 v2, v11
	v_mov_b32_e32 v4, v12
	s_waitcnt lgkmcnt(0)
	s_mul_i32 s13, s13, s20
	s_mul_hi_u32 s14, s12, s20
	s_mul_i32 s12, s12, s20
	s_add_i32 s13, s14, s13
	v_lshlrev_b64 v[1:2], 3, v[1:2]
	s_lshl_b64 s[12:13], s[12:13], 3
	v_mad_u64_u32 v[11:12], null, s17, v18, v[8:9]
	s_add_u32 s12, s8, s12
	s_addc_u32 s13, s9, s13
	s_lshl_b64 s[8:9], s[28:29], 3
	v_mov_b32_e32 v8, v10
	s_add_u32 s8, s12, s8
	s_addc_u32 s9, s13, s9
	v_add_co_u32 v12, vcc_lo, s8, v1
	v_mov_b32_e32 v6, v13
	v_add_co_ci_u32_e32 v13, vcc_lo, s9, v2, vcc_lo
	v_lshlrev_b64 v[1:2], 3, v[3:4]
	v_mad_u64_u32 v[3:4], null, s17, v16, v[8:9]
	v_mov_b32_e32 v8, v11
	v_lshlrev_b64 v[4:5], 3, v[5:6]
	v_add_co_u32 v1, vcc_lo, v12, v1
	v_lshlrev_b64 v[6:7], 3, v[7:8]
	v_mov_b32_e32 v10, v3
	v_add_co_ci_u32_e32 v2, vcc_lo, v13, v2, vcc_lo
	v_add_co_u32 v3, vcc_lo, v12, v4
	v_lshlrev_b64 v[8:9], 3, v[9:10]
	v_add_co_ci_u32_e32 v4, vcc_lo, v13, v5, vcc_lo
	v_add_co_u32 v5, vcc_lo, v12, v6
	v_add_co_ci_u32_e32 v6, vcc_lo, v13, v7, vcc_lo
	v_add_co_u32 v7, vcc_lo, v12, v8
	v_add_co_ci_u32_e32 v8, vcc_lo, v13, v9, vcc_lo
	s_clause 0x3
	global_load_dwordx2 v[1:2], v[1:2], off
	global_load_dwordx2 v[3:4], v[3:4], off
	;; [unrolled: 1-line block ×4, first 2 shown]
	v_add3_u32 v9, 0, v21, v22
	s_waitcnt vmcnt(2)
	ds_write2_b64 v9, v[1:2], v[3:4] offset1:56
	s_waitcnt vmcnt(0)
	ds_write2_b64 v9, v[5:6], v[7:8] offset0:112 offset1:168
.LBB0_14:
	s_or_b32 exec_lo, exec_lo, s24
	s_add_u32 s8, 0, 0x71c4fc00
	s_addc_u32 s9, 0, 0x7c
	s_mul_hi_u32 s13, s8, -9
	s_add_i32 s9, s9, 0x1c71c6a0
	v_mov_b32_e32 v1, 0x493
	s_sub_i32 s13, s13, s8
	s_mul_i32 s15, s9, -9
	s_mul_i32 s12, s8, -9
	s_add_i32 s13, s13, s15
	s_mul_hi_u32 s14, s9, s12
	s_mul_i32 s15, s9, s12
	s_mul_i32 s16, s8, s13
	s_mul_hi_u32 s12, s8, s12
	v_mul_u32_u24_sdwa v1, v0, v1 dst_sel:DWORD dst_unused:UNUSED_PAD src0_sel:WORD_0 src1_sel:DWORD
	s_mul_hi_u32 s17, s8, s13
	s_add_u32 s12, s12, s16
	s_addc_u32 s16, 0, s17
	s_mul_hi_u32 s17, s9, s13
	s_add_u32 s12, s12, s15
	s_addc_u32 s12, s16, s14
	s_mul_i32 s13, s9, s13
	v_lshrrev_b32_e32 v5, 16, v1
	s_addc_u32 s14, s17, 0
	s_add_u32 s12, s12, s13
	s_waitcnt lgkmcnt(0)
	v_add_co_u32 v3, s8, s8, s12
	s_addc_u32 s12, 0, s14
	s_cmp_lg_u32 s8, 0
	v_add_co_u32 v6, s8, s48, v5
	v_add_co_ci_u32_e64 v7, null, s33, 0, s8
	s_addc_u32 s8, s9, s12
	v_mul_hi_u32 v8, v6, v3
	v_mad_u64_u32 v[1:2], null, v6, s8, 0
	v_mad_u64_u32 v[3:4], null, v7, v3, 0
	v_mul_lo_u16 v5, v5, 56
	s_barrier
	buffer_gl0_inv
	v_add_co_u32 v8, vcc_lo, v8, v1
	v_add_co_ci_u32_e32 v9, vcc_lo, 0, v2, vcc_lo
	v_mad_u64_u32 v[1:2], null, v7, s8, 0
	v_add_co_u32 v3, vcc_lo, v8, v3
	v_add_co_ci_u32_e32 v3, vcc_lo, v9, v4, vcc_lo
	v_sub_nc_u16 v25, v0, v5
	s_mov_b32 s8, exec_lo
	v_add_co_ci_u32_e32 v2, vcc_lo, 0, v2, vcc_lo
	v_add_co_u32 v1, vcc_lo, v3, v1
	v_add_co_ci_u32_e32 v3, vcc_lo, 0, v2, vcc_lo
	v_mad_u64_u32 v[1:2], null, v1, 9, 0
	v_mad_u64_u32 v[2:3], null, v3, 9, v[2:3]
	v_sub_co_u32 v1, vcc_lo, v6, v1
	v_sub_co_ci_u32_e32 v2, vcc_lo, v7, v2, vcc_lo
	v_sub_co_u32 v3, vcc_lo, v1, 9
	v_subrev_co_ci_u32_e32 v4, vcc_lo, 0, v2, vcc_lo
	v_cmp_lt_u32_e32 vcc_lo, 8, v3
	v_cndmask_b32_e64 v6, 0, -1, vcc_lo
	v_cmp_lt_u32_e32 vcc_lo, 8, v1
	v_cndmask_b32_e64 v7, 0, -1, vcc_lo
	v_cmp_eq_u32_e32 vcc_lo, 0, v4
	v_cndmask_b32_e32 v4, -1, v6, vcc_lo
	v_cmp_eq_u32_e32 vcc_lo, 0, v2
	v_add_nc_u32_e32 v6, -9, v3
	v_cndmask_b32_e32 v2, -1, v7, vcc_lo
	v_cmp_ne_u32_e32 vcc_lo, 0, v4
	v_mov_b32_e32 v4, 3
	v_cndmask_b32_e32 v3, v3, v6, vcc_lo
	v_cmp_ne_u32_e32 vcc_lo, 0, v2
	v_cndmask_b32_e32 v0, v1, v3, vcc_lo
	v_lshlrev_b32_sdwa v1, v4, v25 dst_sel:DWORD dst_unused:UNUSED_PAD src0_sel:DWORD src1_sel:WORD_0
	v_mul_u32_u24_e32 v0, 0xe0, v0
	v_add_nc_u32_e32 v27, 0, v1
	v_lshlrev_b32_e32 v26, 3, v0
	v_add_nc_u32_e32 v23, v27, v26
	v_add3_u32 v24, 0, v26, v1
	ds_read2_b64 v[0:3], v23 offset0:84 offset1:112
	ds_read_b64 v[12:13], v24
	ds_read2_b64 v[4:7], v23 offset0:28 offset1:56
	ds_read2_b64 v[8:11], v23 offset0:140 offset1:168
	ds_read_b64 v[14:15], v23 offset:1568
	s_waitcnt lgkmcnt(0)
	s_barrier
	buffer_gl0_inv
	v_sub_f32_e32 v2, v12, v2
	v_sub_f32_e32 v3, v13, v3
	;; [unrolled: 1-line block ×8, first 2 shown]
	v_fma_f32 v12, v12, 2.0, -v2
	v_fma_f32 v13, v13, 2.0, -v3
	;; [unrolled: 1-line block ×8, first 2 shown]
	v_sub_f32_e32 v11, v2, v11
	v_add_f32_e32 v28, v3, v10
	v_sub_f32_e32 v10, v8, v15
	v_add_f32_e32 v29, v9, v14
	v_sub_f32_e32 v30, v12, v6
	v_sub_f32_e32 v31, v13, v7
	v_fma_f32 v32, v2, 2.0, -v11
	v_fma_f32 v33, v3, 2.0, -v28
	v_sub_f32_e32 v0, v4, v0
	v_sub_f32_e32 v1, v5, v1
	v_fma_f32 v8, v8, 2.0, -v10
	v_fma_f32 v9, v9, 2.0, -v29
	v_fmamk_f32 v14, v10, 0x3f3504f3, v11
	v_fmamk_f32 v15, v29, 0x3f3504f3, v28
	v_fma_f32 v12, v12, 2.0, -v30
	v_fma_f32 v13, v13, 2.0, -v31
	;; [unrolled: 1-line block ×4, first 2 shown]
	v_fmamk_f32 v2, v8, 0xbf3504f3, v32
	v_fmamk_f32 v3, v9, 0xbf3504f3, v33
	v_sub_f32_e32 v4, v30, v1
	v_add_f32_e32 v5, v31, v0
	v_fmac_f32_e32 v14, 0xbf3504f3, v29
	v_fmac_f32_e32 v15, 0x3f3504f3, v10
	v_sub_f32_e32 v6, v12, v6
	v_sub_f32_e32 v7, v13, v7
	v_fmac_f32_e32 v2, 0xbf3504f3, v9
	v_fmac_f32_e32 v3, 0x3f3504f3, v8
	v_fma_f32 v8, v30, 2.0, -v4
	v_fma_f32 v9, v31, 2.0, -v5
	;; [unrolled: 1-line block ×8, first 2 shown]
	v_cmpx_gt_u16_e32 28, v25
	s_cbranch_execz .LBB0_16
; %bb.15:
	v_mov_b32_e32 v28, 56
	v_mul_u32_u24_sdwa v28, v25, v28 dst_sel:DWORD dst_unused:UNUSED_PAD src0_sel:WORD_0 src1_sel:DWORD
	v_add3_u32 v27, v27, v28, v26
	ds_write2_b64 v27, v[0:1], v[12:13] offset1:1
	ds_write2_b64 v27, v[8:9], v[10:11] offset0:2 offset1:3
	ds_write2_b64 v27, v[6:7], v[2:3] offset0:4 offset1:5
	;; [unrolled: 1-line block ×3, first 2 shown]
.LBB0_16:
	s_or_b32 exec_lo, exec_lo, s8
	v_mov_b32_e32 v14, 32
	s_waitcnt lgkmcnt(0)
	s_barrier
	buffer_gl0_inv
	v_cmp_lt_u16_sdwa s9, v25, v14 src0_sel:WORD_0 src1_sel:DWORD
	s_and_saveexec_b32 s8, s9
	s_cbranch_execz .LBB0_18
; %bb.17:
	ds_read2_b64 v[2:5], v23 offset0:160 offset1:192
	ds_read2_b64 v[8:11], v23 offset0:96 offset1:128
	;; [unrolled: 1-line block ×3, first 2 shown]
	ds_read_b64 v[0:1], v24
	s_waitcnt lgkmcnt(2)
	v_mov_b32_e32 v7, v11
	v_mov_b32_e32 v6, v10
	;; [unrolled: 1-line block ×4, first 2 shown]
	s_waitcnt lgkmcnt(1)
	v_mov_b32_e32 v9, v15
	v_mov_b32_e32 v8, v14
.LBB0_18:
	s_or_b32 exec_lo, exec_lo, s8
	s_waitcnt lgkmcnt(0)
	s_barrier
	buffer_gl0_inv
	s_and_saveexec_b32 s8, s9
	s_cbranch_execz .LBB0_20
; %bb.19:
	v_mov_b32_e32 v14, 7
	v_and_b32_sdwa v14, v25, v14 dst_sel:DWORD dst_unused:UNUSED_PAD src0_sel:WORD_0 src1_sel:DWORD
	v_mul_u32_u24_e32 v15, 6, v14
	v_lshlrev_b32_e32 v15, 3, v15
	s_clause 0x2
	global_load_dwordx4 v[27:30], v15, s[22:23]
	global_load_dwordx4 v[31:34], v15, s[22:23] offset:32
	global_load_dwordx4 v[35:38], v15, s[22:23] offset:16
	v_mov_b32_e32 v15, 3
	v_lshrrev_b32_sdwa v15, v15, v25 dst_sel:DWORD dst_unused:UNUSED_PAD src0_sel:DWORD src1_sel:WORD_0
	v_mul_u32_u24_e32 v15, 56, v15
	v_or_b32_e32 v14, v15, v14
	v_lshlrev_b32_e32 v14, 3, v14
	v_add3_u32 v14, 0, v14, v26
	s_waitcnt vmcnt(2)
	v_mul_f32_e32 v15, v13, v28
	s_waitcnt vmcnt(1)
	v_mul_f32_e32 v26, v5, v34
	v_mul_f32_e32 v41, v9, v30
	;; [unrolled: 1-line block ×7, first 2 shown]
	s_waitcnt vmcnt(0)
	v_mul_f32_e32 v39, v7, v38
	v_mul_f32_e32 v40, v11, v36
	;; [unrolled: 1-line block ×4, first 2 shown]
	v_fma_f32 v12, v12, v27, -v15
	v_fma_f32 v4, v4, v33, -v26
	;; [unrolled: 1-line block ×4, first 2 shown]
	v_fmac_f32_e32 v34, v5, v33
	v_fmac_f32_e32 v28, v13, v27
	;; [unrolled: 1-line block ×4, first 2 shown]
	v_fma_f32 v6, v6, v37, -v39
	v_fma_f32 v10, v10, v35, -v40
	v_fmac_f32_e32 v36, v11, v35
	v_fmac_f32_e32 v38, v7, v37
	v_sub_f32_e32 v3, v12, v4
	v_sub_f32_e32 v7, v8, v2
	v_add_f32_e32 v9, v28, v34
	v_add_f32_e32 v13, v30, v32
	;; [unrolled: 1-line block ×4, first 2 shown]
	v_sub_f32_e32 v5, v6, v10
	v_add_f32_e32 v11, v36, v38
	v_add_f32_e32 v6, v10, v6
	v_sub_f32_e32 v8, v28, v34
	v_sub_f32_e32 v10, v38, v36
	;; [unrolled: 1-line block ×3, first 2 shown]
	v_add_f32_e32 v29, v13, v9
	v_add_f32_e32 v32, v2, v4
	v_sub_f32_e32 v15, v3, v5
	v_sub_f32_e32 v26, v5, v7
	v_add_f32_e32 v5, v5, v7
	v_sub_f32_e32 v27, v9, v11
	v_sub_f32_e32 v28, v11, v13
	;; [unrolled: 1-line block ×6, first 2 shown]
	v_add_f32_e32 v10, v10, v12
	v_sub_f32_e32 v7, v7, v3
	v_sub_f32_e32 v2, v2, v4
	v_sub_f32_e32 v4, v12, v8
	v_add_f32_e32 v11, v11, v29
	v_add_f32_e32 v6, v6, v32
	v_sub_f32_e32 v9, v13, v9
	v_mul_f32_e32 v12, 0xbf08b237, v26
	v_add_f32_e32 v3, v5, v3
	v_mul_f32_e32 v5, 0x3f4a47b2, v27
	v_mul_f32_e32 v13, 0x3d64c772, v28
	;; [unrolled: 1-line block ×4, first 2 shown]
	v_add_f32_e32 v8, v10, v8
	v_mul_f32_e32 v10, 0x3f5ff5aa, v7
	v_mul_f32_e32 v30, 0x3f5ff5aa, v4
	v_add_f32_e32 v1, v1, v11
	v_add_f32_e32 v0, v0, v6
	v_mul_f32_e32 v27, 0x3d64c772, v31
	v_fmamk_f32 v32, v15, 0x3eae86e6, v12
	v_fmamk_f32 v28, v28, 0x3d64c772, v5
	;; [unrolled: 1-line block ×4, first 2 shown]
	v_fma_f32 v10, 0xbeae86e6, v15, -v10
	v_fma_f32 v5, 0xbf3bfb3b, v9, -v5
	v_fma_f32 v15, 0xbf3bfb3b, v2, -v26
	v_fma_f32 v26, 0xbeae86e6, v33, -v30
	v_fma_f32 v9, 0x3f3bfb3b, v9, -v13
	v_fma_f32 v12, 0x3f5ff5aa, v7, -v12
	v_fma_f32 v29, 0x3f5ff5aa, v4, -v29
	v_fmamk_f32 v4, v11, 0xbf955555, v1
	v_fmamk_f32 v6, v6, 0xbf955555, v0
	v_fma_f32 v2, 0x3f3bfb3b, v2, -v27
	v_fmac_f32_e32 v32, 0x3ee1c552, v3
	v_fmac_f32_e32 v34, 0x3ee1c552, v8
	;; [unrolled: 1-line block ×5, first 2 shown]
	v_add_f32_e32 v13, v28, v4
	v_add_f32_e32 v27, v31, v6
	;; [unrolled: 1-line block ×3, first 2 shown]
	v_fmac_f32_e32 v10, 0x3ee1c552, v3
	v_add_f32_e32 v11, v5, v4
	v_add_f32_e32 v15, v15, v6
	;; [unrolled: 1-line block ×4, first 2 shown]
	v_sub_f32_e32 v7, v8, v12
	v_add_f32_e32 v9, v12, v8
	v_sub_f32_e32 v13, v13, v32
	v_add_f32_e32 v12, v34, v27
	v_add_f32_e32 v5, v10, v11
	v_sub_f32_e32 v8, v2, v29
	v_sub_f32_e32 v11, v11, v10
	v_add_f32_e32 v10, v26, v15
	v_sub_f32_e32 v4, v15, v26
	v_add_f32_e32 v6, v29, v2
	v_sub_f32_e32 v2, v27, v34
	ds_write2_b64 v14, v[0:1], v[12:13] offset1:8
	ds_write2_b64 v14, v[10:11], v[8:9] offset0:16 offset1:24
	ds_write2_b64 v14, v[6:7], v[4:5] offset0:32 offset1:40
	ds_write_b64 v14, v[2:3] offset:384
.LBB0_20:
	s_or_b32 exec_lo, exec_lo, s8
	v_mov_b32_e32 v0, 3
	s_load_dwordx2 s[6:7], s[6:7], 0x0
	s_waitcnt lgkmcnt(0)
	s_barrier
	buffer_gl0_inv
	v_mul_u32_u24_sdwa v0, v25, v0 dst_sel:DWORD dst_unused:UNUSED_PAD src0_sel:WORD_0 src1_sel:DWORD
	v_lshlrev_b32_e32 v4, 3, v0
	s_clause 0x1
	global_load_dwordx4 v[0:3], v4, s[22:23] offset:384
	global_load_dwordx2 v[8:9], v4, s[22:23] offset:400
	ds_read2_b64 v[4:7], v23 offset0:56 offset1:112
	ds_read_b64 v[10:11], v23 offset:1344
	ds_read_b64 v[12:13], v24
	s_waitcnt vmcnt(0) lgkmcnt(0)
	s_barrier
	buffer_gl0_inv
	v_mul_f32_e32 v14, v1, v5
	v_mul_f32_e32 v1, v1, v4
	;; [unrolled: 1-line block ×6, first 2 shown]
	v_fma_f32 v4, v0, v4, -v14
	v_fmac_f32_e32 v1, v0, v5
	v_fma_f32 v0, v2, v6, -v15
	v_fmac_f32_e32 v3, v2, v7
	;; [unrolled: 2-line block ×3, first 2 shown]
	v_sub_f32_e32 v5, v12, v0
	v_sub_f32_e32 v6, v13, v3
	;; [unrolled: 1-line block ×4, first 2 shown]
	v_fma_f32 v7, v12, 2.0, -v5
	v_fma_f32 v8, v13, 2.0, -v6
	;; [unrolled: 1-line block ×4, first 2 shown]
	v_sub_f32_e32 v0, v5, v0
	v_add_f32_e32 v1, v6, v2
	v_sub_f32_e32 v2, v7, v3
	v_sub_f32_e32 v3, v8, v4
	v_fma_f32 v4, v5, 2.0, -v0
	v_fma_f32 v5, v6, 2.0, -v1
	;; [unrolled: 1-line block ×4, first 2 shown]
	ds_write2_b64 v23, v[2:3], v[0:1] offset0:112 offset1:168
	ds_write2_b64 v23, v[6:7], v[4:5] offset1:56
	s_waitcnt lgkmcnt(0)
	s_barrier
	buffer_gl0_inv
	s_and_saveexec_b32 s8, s21
	s_cbranch_execz .LBB0_22
; %bb.21:
	v_mad_u64_u32 v[4:5], null, s2, v20, 0
	v_mad_u64_u32 v[6:7], null, s0, v19, 0
	s_mul_i32 s7, s7, s20
	s_mul_hi_u32 s8, s6, s20
	s_mul_i32 s2, s6, s20
	v_mad_u64_u32 v[8:9], null, s0, v17, 0
	v_mov_b32_e32 v0, v5
	v_mov_b32_e32 v1, v7
	v_mad_u64_u32 v[10:11], null, s0, v18, 0
	v_mad_u64_u32 v[12:13], null, s0, v16, 0
	;; [unrolled: 1-line block ×3, first 2 shown]
	s_add_i32 s3, s8, s7
	s_lshl_b64 s[2:3], s[2:3], 3
	v_mad_u64_u32 v[14:15], null, s1, v17, v[9:10]
	s_add_u32 s6, s10, s2
	v_mad_u64_u32 v[0:1], null, s1, v19, v[1:2]
	v_mov_b32_e32 v5, v2
	s_addc_u32 s7, s11, s3
	s_lshl_b64 s[2:3], s[4:5], 3
	v_mad_u64_u32 v[17:18], null, s1, v18, v[11:12]
	v_lshlrev_b64 v[4:5], 3, v[4:5]
	v_mov_b32_e32 v7, v0
	s_add_u32 s2, s6, s2
	s_addc_u32 s3, s7, s3
	v_add3_u32 v19, 0, v21, v22
	v_mov_b32_e32 v9, v14
	v_add_co_u32 v18, vcc_lo, s2, v4
	v_add_co_ci_u32_e32 v20, vcc_lo, s3, v5, vcc_lo
	v_lshlrev_b64 v[5:6], 3, v[6:7]
	v_mov_b32_e32 v4, v13
	ds_read2_b64 v[0:3], v19 offset1:56
	v_mov_b32_e32 v11, v17
	v_lshlrev_b64 v[8:9], 3, v[8:9]
	v_mad_u64_u32 v[13:14], null, s1, v16, v[4:5]
	v_add_co_u32 v14, vcc_lo, v18, v5
	v_add_co_ci_u32_e32 v15, vcc_lo, v20, v6, vcc_lo
	ds_read2_b64 v[4:7], v19 offset0:112 offset1:168
	v_lshlrev_b64 v[10:11], 3, v[10:11]
	v_add_co_u32 v8, vcc_lo, v18, v8
	v_lshlrev_b64 v[12:13], 3, v[12:13]
	v_add_co_ci_u32_e32 v9, vcc_lo, v20, v9, vcc_lo
	v_add_co_u32 v10, vcc_lo, v18, v10
	v_add_co_ci_u32_e32 v11, vcc_lo, v20, v11, vcc_lo
	v_add_co_u32 v12, vcc_lo, v18, v12
	v_add_co_ci_u32_e32 v13, vcc_lo, v20, v13, vcc_lo
	s_waitcnt lgkmcnt(1)
	global_store_dwordx2 v[14:15], v[0:1], off
	global_store_dwordx2 v[8:9], v[2:3], off
	s_waitcnt lgkmcnt(0)
	global_store_dwordx2 v[10:11], v[4:5], off
	global_store_dwordx2 v[12:13], v[6:7], off
.LBB0_22:
	s_endpgm
	.section	.rodata,"a",@progbits
	.p2align	6, 0x0
	.amdhsa_kernel fft_rtc_fwd_len224_factors_8_7_4_wgs_504_tpt_56_sp_op_CI_CI_sbcc
		.amdhsa_group_segment_fixed_size 0
		.amdhsa_private_segment_fixed_size 0
		.amdhsa_kernarg_size 112
		.amdhsa_user_sgpr_count 6
		.amdhsa_user_sgpr_private_segment_buffer 1
		.amdhsa_user_sgpr_dispatch_ptr 0
		.amdhsa_user_sgpr_queue_ptr 0
		.amdhsa_user_sgpr_kernarg_segment_ptr 1
		.amdhsa_user_sgpr_dispatch_id 0
		.amdhsa_user_sgpr_flat_scratch_init 0
		.amdhsa_user_sgpr_private_segment_size 0
		.amdhsa_wavefront_size32 1
		.amdhsa_uses_dynamic_stack 0
		.amdhsa_system_sgpr_private_segment_wavefront_offset 0
		.amdhsa_system_sgpr_workgroup_id_x 1
		.amdhsa_system_sgpr_workgroup_id_y 0
		.amdhsa_system_sgpr_workgroup_id_z 0
		.amdhsa_system_sgpr_workgroup_info 0
		.amdhsa_system_vgpr_workitem_id 0
		.amdhsa_next_free_vgpr 43
		.amdhsa_next_free_sgpr 57
		.amdhsa_reserve_vcc 1
		.amdhsa_reserve_flat_scratch 0
		.amdhsa_float_round_mode_32 0
		.amdhsa_float_round_mode_16_64 0
		.amdhsa_float_denorm_mode_32 3
		.amdhsa_float_denorm_mode_16_64 3
		.amdhsa_dx10_clamp 1
		.amdhsa_ieee_mode 1
		.amdhsa_fp16_overflow 0
		.amdhsa_workgroup_processor_mode 1
		.amdhsa_memory_ordered 1
		.amdhsa_forward_progress 0
		.amdhsa_shared_vgpr_count 0
		.amdhsa_exception_fp_ieee_invalid_op 0
		.amdhsa_exception_fp_denorm_src 0
		.amdhsa_exception_fp_ieee_div_zero 0
		.amdhsa_exception_fp_ieee_overflow 0
		.amdhsa_exception_fp_ieee_underflow 0
		.amdhsa_exception_fp_ieee_inexact 0
		.amdhsa_exception_int_div_zero 0
	.end_amdhsa_kernel
	.text
.Lfunc_end0:
	.size	fft_rtc_fwd_len224_factors_8_7_4_wgs_504_tpt_56_sp_op_CI_CI_sbcc, .Lfunc_end0-fft_rtc_fwd_len224_factors_8_7_4_wgs_504_tpt_56_sp_op_CI_CI_sbcc
                                        ; -- End function
	.section	.AMDGPU.csdata,"",@progbits
; Kernel info:
; codeLenInByte = 4348
; NumSgprs: 59
; NumVgprs: 43
; ScratchSize: 0
; MemoryBound: 0
; FloatMode: 240
; IeeeMode: 1
; LDSByteSize: 0 bytes/workgroup (compile time only)
; SGPRBlocks: 7
; VGPRBlocks: 5
; NumSGPRsForWavesPerEU: 59
; NumVGPRsForWavesPerEU: 43
; Occupancy: 16
; WaveLimiterHint : 1
; COMPUTE_PGM_RSRC2:SCRATCH_EN: 0
; COMPUTE_PGM_RSRC2:USER_SGPR: 6
; COMPUTE_PGM_RSRC2:TRAP_HANDLER: 0
; COMPUTE_PGM_RSRC2:TGID_X_EN: 1
; COMPUTE_PGM_RSRC2:TGID_Y_EN: 0
; COMPUTE_PGM_RSRC2:TGID_Z_EN: 0
; COMPUTE_PGM_RSRC2:TIDIG_COMP_CNT: 0
	.text
	.p2alignl 6, 3214868480
	.fill 48, 4, 3214868480
	.type	__hip_cuid_5299728bb334dcfa,@object ; @__hip_cuid_5299728bb334dcfa
	.section	.bss,"aw",@nobits
	.globl	__hip_cuid_5299728bb334dcfa
__hip_cuid_5299728bb334dcfa:
	.byte	0                               ; 0x0
	.size	__hip_cuid_5299728bb334dcfa, 1

	.ident	"AMD clang version 19.0.0git (https://github.com/RadeonOpenCompute/llvm-project roc-6.4.0 25133 c7fe45cf4b819c5991fe208aaa96edf142730f1d)"
	.section	".note.GNU-stack","",@progbits
	.addrsig
	.addrsig_sym __hip_cuid_5299728bb334dcfa
	.amdgpu_metadata
---
amdhsa.kernels:
  - .args:
      - .actual_access:  read_only
        .address_space:  global
        .offset:         0
        .size:           8
        .value_kind:     global_buffer
      - .address_space:  global
        .offset:         8
        .size:           8
        .value_kind:     global_buffer
      - .offset:         16
        .size:           8
        .value_kind:     by_value
      - .actual_access:  read_only
        .address_space:  global
        .offset:         24
        .size:           8
        .value_kind:     global_buffer
      - .actual_access:  read_only
        .address_space:  global
        .offset:         32
        .size:           8
        .value_kind:     global_buffer
      - .actual_access:  read_only
        .address_space:  global
        .offset:         40
        .size:           8
        .value_kind:     global_buffer
      - .offset:         48
        .size:           8
        .value_kind:     by_value
      - .actual_access:  read_only
        .address_space:  global
        .offset:         56
        .size:           8
        .value_kind:     global_buffer
      - .actual_access:  read_only
        .address_space:  global
        .offset:         64
        .size:           8
        .value_kind:     global_buffer
      - .offset:         72
        .size:           4
        .value_kind:     by_value
      - .actual_access:  read_only
        .address_space:  global
        .offset:         80
        .size:           8
        .value_kind:     global_buffer
      - .actual_access:  read_only
        .address_space:  global
        .offset:         88
        .size:           8
        .value_kind:     global_buffer
      - .actual_access:  read_only
        .address_space:  global
        .offset:         96
        .size:           8
        .value_kind:     global_buffer
      - .actual_access:  write_only
        .address_space:  global
        .offset:         104
        .size:           8
        .value_kind:     global_buffer
    .group_segment_fixed_size: 0
    .kernarg_segment_align: 8
    .kernarg_segment_size: 112
    .language:       OpenCL C
    .language_version:
      - 2
      - 0
    .max_flat_workgroup_size: 504
    .name:           fft_rtc_fwd_len224_factors_8_7_4_wgs_504_tpt_56_sp_op_CI_CI_sbcc
    .private_segment_fixed_size: 0
    .sgpr_count:     59
    .sgpr_spill_count: 0
    .symbol:         fft_rtc_fwd_len224_factors_8_7_4_wgs_504_tpt_56_sp_op_CI_CI_sbcc.kd
    .uniform_work_group_size: 1
    .uses_dynamic_stack: false
    .vgpr_count:     43
    .vgpr_spill_count: 0
    .wavefront_size: 32
    .workgroup_processor_mode: 1
amdhsa.target:   amdgcn-amd-amdhsa--gfx1030
amdhsa.version:
  - 1
  - 2
...

	.end_amdgpu_metadata
